;; amdgpu-corpus repo=ROCm/rocFFT kind=compiled arch=gfx1201 opt=O3
	.text
	.amdgcn_target "amdgcn-amd-amdhsa--gfx1201"
	.amdhsa_code_object_version 6
	.protected	fft_rtc_back_len81_factors_3_3_3_3_wgs_243_tpt_27_sp_op_CI_CI_sbrc_xy_z_aligned_dirReg ; -- Begin function fft_rtc_back_len81_factors_3_3_3_3_wgs_243_tpt_27_sp_op_CI_CI_sbrc_xy_z_aligned_dirReg
	.globl	fft_rtc_back_len81_factors_3_3_3_3_wgs_243_tpt_27_sp_op_CI_CI_sbrc_xy_z_aligned_dirReg
	.p2align	8
	.type	fft_rtc_back_len81_factors_3_3_3_3_wgs_243_tpt_27_sp_op_CI_CI_sbrc_xy_z_aligned_dirReg,@function
fft_rtc_back_len81_factors_3_3_3_3_wgs_243_tpt_27_sp_op_CI_CI_sbrc_xy_z_aligned_dirReg: ; @fft_rtc_back_len81_factors_3_3_3_3_wgs_243_tpt_27_sp_op_CI_CI_sbrc_xy_z_aligned_dirReg
; %bb.0:
	s_clause 0x2
	s_load_b128 s[12:15], s[0:1], 0x10
	s_load_b64 s[24:25], s[0:1], 0x0
	s_load_b64 s[26:27], s[0:1], 0x20
	s_mov_b32 s2, ttmp9
	s_mov_b64 s[30:31], 0
	s_wait_kmcnt 0x0
	s_load_b128 s[20:23], s[12:13], 0x8
	s_clause 0x1
	s_load_b128 s[16:19], s[14:15], 0x0
	s_load_b64 s[28:29], s[14:15], 0x10
	s_wait_kmcnt 0x0
	s_add_co_i32 s3, s22, -1
	s_delay_alu instid0(SALU_CYCLE_1) | instskip(NEXT) | instid1(SALU_CYCLE_1)
	s_mul_hi_u32 s3, s3, 0x38e38e39
	s_lshr_b32 s3, s3, 1
	s_delay_alu instid0(SALU_CYCLE_1) | instskip(NEXT) | instid1(SALU_CYCLE_1)
	s_add_co_i32 s3, s3, 1
	s_mul_i32 s8, s3, s20
	s_delay_alu instid0(SALU_CYCLE_1) | instskip(SKIP_1) | instid1(SALU_CYCLE_2)
	s_cvt_f32_u32 s3, s8
	s_sub_co_i32 s4, 0, s8
	v_rcp_iflag_f32_e32 v1, s3
	s_delay_alu instid0(TRANS32_DEP_1) | instskip(SKIP_1) | instid1(VALU_DEP_2)
	v_readfirstlane_b32 s3, v1
	v_cvt_f32_u32_e32 v1, s20
	s_mul_f32 s3, s3, 0x4f7ffffe
	s_wait_alu 0xfffe
	s_delay_alu instid0(SALU_CYCLE_2) | instskip(SKIP_1) | instid1(SALU_CYCLE_2)
	s_cvt_u32_f32 s3, s3
	s_wait_alu 0xfffe
	s_mul_i32 s4, s4, s3
	s_delay_alu instid0(SALU_CYCLE_1) | instskip(NEXT) | instid1(SALU_CYCLE_1)
	s_mul_hi_u32 s4, s3, s4
	s_add_co_i32 s3, s3, s4
	s_wait_alu 0xfffe
	s_mul_hi_u32 s3, ttmp9, s3
	s_wait_alu 0xfffe
	s_mul_i32 s4, s3, s8
	s_add_co_i32 s10, s3, 1
	s_sub_co_i32 s9, ttmp9, s4
	s_clause 0x1
	s_load_b128 s[4:7], s[26:27], 0x0
	s_load_b64 s[22:23], s[26:27], 0x10
	s_sub_co_i32 s11, s9, s8
	s_cmp_ge_u32 s9, s8
	s_cselect_b32 s3, s10, s3
	s_wait_kmcnt 0x0
	s_cselect_b32 s7, s11, s9
	s_wait_alu 0xfffe
	s_add_co_i32 s9, s3, 1
	s_cmp_ge_u32 s7, s8
	s_cselect_b32 s12, s9, s3
	s_mov_b32 s3, 0
	s_mul_i32 s7, s12, s8
	s_wait_alu 0xfffe
	s_mov_b32 s9, s3
	s_sub_co_i32 s8, ttmp9, s7
	s_delay_alu instid0(SALU_CYCLE_1) | instskip(NEXT) | instid1(VALU_DEP_1)
	v_cmp_lt_u64_e64 s7, s[8:9], s[20:21]
	s_and_b32 vcc_lo, exec_lo, s7
	s_cbranch_vccnz .LBB0_2
; %bb.1:
	v_rcp_iflag_f32_e32 v2, v1
	s_sub_co_i32 s9, 0, s20
	s_delay_alu instid0(TRANS32_DEP_1) | instskip(NEXT) | instid1(VALU_DEP_1)
	v_mul_f32_e32 v2, 0x4f7ffffe, v2
	v_cvt_u32_f32_e32 v2, v2
	s_delay_alu instid0(VALU_DEP_1) | instskip(SKIP_1) | instid1(VALU_DEP_1)
	v_readfirstlane_b32 s7, v2
	s_wait_alu 0xfffe
	s_mul_i32 s9, s9, s7
	s_wait_alu 0xfffe
	s_mul_hi_u32 s9, s7, s9
	s_wait_alu 0xfffe
	s_add_co_i32 s7, s7, s9
	s_delay_alu instid0(SALU_CYCLE_1) | instskip(NEXT) | instid1(SALU_CYCLE_1)
	s_mul_hi_u32 s7, s8, s7
	s_mul_i32 s9, s7, s20
	s_wait_alu 0xfffe
	s_sub_co_i32 s8, s8, s9
	s_add_co_i32 s9, s7, 1
	s_wait_alu 0xfffe
	s_sub_co_i32 s10, s8, s20
	s_cmp_ge_u32 s8, s20
	s_cselect_b32 s7, s9, s7
	s_cselect_b32 s8, s10, s8
	s_add_co_i32 s9, s7, 1
	s_wait_alu 0xfffe
	s_cmp_ge_u32 s8, s20
	s_cselect_b32 s30, s9, s7
.LBB0_2:
	s_load_b128 s[8:11], s[0:1], 0x58
	v_cmp_lt_u64_e64 s3, s[2:3], s[20:21]
	s_delay_alu instid0(VALU_DEP_1)
	s_and_b32 vcc_lo, exec_lo, s3
	s_cbranch_vccnz .LBB0_4
; %bb.3:
	v_rcp_iflag_f32_e32 v1, v1
	s_sub_co_i32 s7, 0, s20
	s_delay_alu instid0(TRANS32_DEP_1) | instskip(NEXT) | instid1(VALU_DEP_1)
	v_mul_f32_e32 v1, 0x4f7ffffe, v1
	v_cvt_u32_f32_e32 v1, v1
	s_delay_alu instid0(VALU_DEP_1) | instskip(NEXT) | instid1(VALU_DEP_1)
	v_readfirstlane_b32 s3, v1
	s_mul_i32 s7, s7, s3
	s_delay_alu instid0(SALU_CYCLE_1) | instskip(NEXT) | instid1(SALU_CYCLE_1)
	s_mul_hi_u32 s7, s3, s7
	s_add_co_i32 s3, s3, s7
	s_wait_alu 0xfffe
	s_mul_hi_u32 s3, s2, s3
	s_wait_alu 0xfffe
	s_mul_i32 s3, s3, s20
	s_wait_alu 0xfffe
	s_sub_co_i32 s2, s2, s3
	s_wait_alu 0xfffe
	s_sub_co_i32 s3, s2, s20
	s_cmp_ge_u32 s2, s20
	s_wait_alu 0xfffe
	s_cselect_b32 s2, s3, s2
	s_wait_alu 0xfffe
	s_sub_co_i32 s3, s2, s20
	s_cmp_ge_u32 s2, s20
	s_wait_alu 0xfffe
	s_cselect_b32 s2, s3, s2
.LBB0_4:
	s_load_b64 s[0:1], s[0:1], 0x8
	v_mul_u32_u24_e32 v1, 0x32a, v0
	s_mul_i32 s3, s30, 9
	s_mul_i32 s7, s28, 3
	v_mov_b32_e32 v10, 0
	s_delay_alu instid0(VALU_DEP_2) | instskip(NEXT) | instid1(VALU_DEP_1)
	v_lshrrev_b32_e32 v7, 16, v1
	v_mul_lo_u16 v1, 0x51, v7
	v_mul_lo_u32 v9, s28, v7
	v_lshlrev_b32_e32 v7, 3, v7
	s_delay_alu instid0(VALU_DEP_3) | instskip(SKIP_2) | instid1(VALU_DEP_1)
	v_sub_nc_u16 v8, v0, v1
	s_wait_kmcnt 0x0
	s_lshl_b64 s[20:21], s[0:1], 3
	v_and_b32_e32 v3, 0xffff, v8
	s_wait_alu 0xfffe
	s_add_nc_u64 s[0:1], s[14:15], s[20:21]
	v_mul_lo_u16 v8, v8, 9
	s_load_b64 s[14:15], s[0:1], 0x0
	s_mov_b32 s1, 0
	v_mad_co_u64_u32 v[1:2], null, s16, v3, 0
	s_mov_b32 s13, s1
	s_mul_i32 s0, s2, s18
	s_mul_i32 s16, s3, s28
	v_and_b32_e32 v8, 0xffff, v8
	s_wait_alu 0xfffe
	s_add_co_i32 s0, s0, s16
	s_delay_alu instid0(VALU_DEP_2) | instskip(SKIP_4) | instid1(VALU_DEP_2)
	v_mad_co_u64_u32 v[2:3], null, s17, v3, v[2:3]
	v_lshlrev_b64_e32 v[3:4], 3, v[9:10]
	v_add_nc_u32_e32 v9, s7, v9
	s_lshl_b64 s[16:17], s[0:1], 3
	v_lshlrev_b32_e32 v8, 3, v8
	v_lshlrev_b64_e32 v[5:6], 3, v[9:10]
	v_lshlrev_b64_e32 v[1:2], 3, v[1:2]
	s_wait_kmcnt 0x0
	s_mul_u64 s[14:15], s[14:15], s[12:13]
	v_add_nc_u32_e32 v9, s7, v9
	s_lshl_b64 s[14:15], s[14:15], 3
	v_add3_u32 v15, 0, v8, v7
	s_add_nc_u64 s[8:9], s[8:9], s[14:15]
	v_add3_u32 v7, 0, v7, v8
	s_wait_alu 0xfffe
	s_add_nc_u64 s[8:9], s[8:9], s[16:17]
	s_wait_alu 0xfffe
	v_add_co_u32 v11, vcc_lo, s8, v1
	v_add_co_ci_u32_e32 v12, vcc_lo, s9, v2, vcc_lo
	v_lshlrev_b64_e32 v[1:2], 3, v[9:10]
	s_delay_alu instid0(VALU_DEP_3) | instskip(SKIP_1) | instid1(VALU_DEP_3)
	v_add_co_u32 v3, vcc_lo, v11, v3
	s_wait_alu 0xfffd
	v_add_co_ci_u32_e32 v4, vcc_lo, v12, v4, vcc_lo
	v_add_co_u32 v5, vcc_lo, v11, v5
	s_wait_alu 0xfffd
	v_add_co_ci_u32_e32 v6, vcc_lo, v12, v6, vcc_lo
	v_add_co_u32 v1, vcc_lo, v11, v1
	s_wait_alu 0xfffd
	v_add_co_ci_u32_e32 v2, vcc_lo, v12, v2, vcc_lo
	s_clause 0x2
	global_load_b64 v[3:4], v[3:4], off
	global_load_b64 v[5:6], v[5:6], off
	;; [unrolled: 1-line block ×3, first 2 shown]
	v_mul_u32_u24_e32 v9, 0x1c72, v0
	s_add_nc_u64 s[8:9], s[26:27], s[20:21]
	s_load_b64 s[8:9], s[8:9], 0x0
	s_wait_loadcnt 0x2
	ds_store_b64 v15, v[3:4]
	s_wait_loadcnt 0x0
	ds_store_2addr_b64 v7, v[5:6], v[1:2] offset0:3 offset1:6
	v_lshrrev_b32_e32 v9, 16, v9
	global_wb scope:SCOPE_SE
	s_wait_dscnt 0x0
	s_wait_kmcnt 0x0
	s_barrier_signal -1
	s_barrier_wait -1
	global_inv scope:SCOPE_SE
	v_mul_lo_u16 v11, v9, 9
	v_mul_lo_u16 v12, 0x56, v9
	s_delay_alu instid0(VALU_DEP_2) | instskip(NEXT) | instid1(VALU_DEP_2)
	v_sub_nc_u16 v11, v0, v11
	v_lshrrev_b16 v16, 8, v12
	v_mul_u32_u24_e32 v0, 0x10e, v0
	s_delay_alu instid0(VALU_DEP_3) | instskip(SKIP_1) | instid1(VALU_DEP_4)
	v_and_b32_e32 v13, 0xffff, v11
	v_mul_u32_u24_e32 v11, 0x48, v9
	v_mul_lo_u16 v7, v16, 3
	s_delay_alu instid0(VALU_DEP_4) | instskip(NEXT) | instid1(VALU_DEP_4)
	v_lshrrev_b32_e32 v0, 16, v0
	v_lshlrev_b32_e32 v14, 3, v13
	s_delay_alu instid0(VALU_DEP_3) | instskip(NEXT) | instid1(VALU_DEP_3)
	v_sub_nc_u16 v7, v9, v7
	v_mul_lo_u16 v0, 0x51, v0
	s_delay_alu instid0(VALU_DEP_3)
	v_add3_u32 v17, 0, v11, v14
	ds_load_2addr_b64 v[1:4], v17 offset1:243
	ds_load_b64 v[5:6], v17 offset:3888
	v_and_b32_e32 v15, 0xff, v7
	v_mad_u32_u24 v7, 0x90, v9, v17
	global_wb scope:SCOPE_SE
	s_wait_dscnt 0x0
	s_barrier_signal -1
	s_barrier_wait -1
	v_lshlrev_b32_e32 v8, 4, v15
	global_inv scope:SCOPE_SE
	v_and_b32_e32 v0, 0xffff, v0
	v_dual_add_f32 v12, v1, v3 :: v_dual_add_f32 v11, v3, v5
	v_add_f32_e32 v18, v4, v6
	v_dual_sub_f32 v19, v4, v6 :: v_dual_add_f32 v4, v2, v4
	s_delay_alu instid0(VALU_DEP_3) | instskip(SKIP_1) | instid1(VALU_DEP_4)
	v_fma_f32 v1, -0.5, v11, v1
	v_sub_f32_e32 v11, v3, v5
	v_fma_f32 v2, -0.5, v18, v2
	v_add_f32_e32 v3, v12, v5
	s_delay_alu instid0(VALU_DEP_4) | instskip(NEXT) | instid1(VALU_DEP_3)
	v_dual_add_f32 v4, v4, v6 :: v_dual_fmamk_f32 v5, v19, 0xbf5db3d7, v1
	v_dual_fmac_f32 v1, 0x3f5db3d7, v19 :: v_dual_fmamk_f32 v6, v11, 0x3f5db3d7, v2
	v_fmac_f32_e32 v2, 0xbf5db3d7, v11
	ds_store_2addr_b64 v7, v[3:4], v[5:6] offset1:9
	ds_store_b64 v7, v[1:2] offset:144
	global_wb scope:SCOPE_SE
	s_wait_dscnt 0x0
	s_barrier_signal -1
	s_barrier_wait -1
	global_inv scope:SCOPE_SE
	global_load_b128 v[1:4], v8, s[24:25]
	v_mul_lo_u16 v5, v9, 29
	s_delay_alu instid0(VALU_DEP_1)
	v_lshrrev_b16 v18, 8, v5
	ds_load_2addr_b64 v[5:8], v17 offset1:243
	ds_load_b64 v[11:12], v17 offset:3888
	global_wb scope:SCOPE_SE
	s_wait_loadcnt_dscnt 0x0
	s_barrier_signal -1
	s_barrier_wait -1
	v_mul_lo_u16 v19, v18, 9
	global_inv scope:SCOPE_SE
	v_sub_nc_u16 v19, v9, v19
	v_mul_f32_e32 v21, v4, v12
	v_and_b32_e32 v16, 0xffff, v16
	s_delay_alu instid0(VALU_DEP_2) | instskip(SKIP_1) | instid1(VALU_DEP_2)
	v_dual_mul_f32 v20, v2, v8 :: v_dual_fmac_f32 v21, v3, v11
	v_mul_f32_e32 v4, v4, v11
	v_fmac_f32_e32 v20, v1, v7
	s_delay_alu instid0(VALU_DEP_4) | instskip(NEXT) | instid1(VALU_DEP_3)
	v_mad_u32_u24 v15, v16, 9, v15
	v_fma_f32 v4, v3, v12, -v4
	v_mul_f32_e32 v2, v2, v7
	s_delay_alu instid0(VALU_DEP_3) | instskip(SKIP_1) | instid1(VALU_DEP_3)
	v_mul_u32_u24_e32 v15, 0x48, v15
	v_add_f32_e32 v3, v20, v5
	v_fma_f32 v1, v1, v8, -v2
	v_dual_add_f32 v2, v20, v21 :: v_dual_and_b32 v19, 0xff, v19
	s_delay_alu instid0(VALU_DEP_4) | instskip(NEXT) | instid1(VALU_DEP_3)
	v_add3_u32 v7, 0, v15, v14
	v_dual_add_f32 v3, v3, v21 :: v_dual_add_f32 v8, v1, v4
	v_sub_f32_e32 v11, v1, v4
	v_add_f32_e32 v12, v1, v6
	v_fma_f32 v1, -0.5, v2, v5
	v_lshlrev_b32_e32 v16, 4, v19
	v_fma_f32 v2, -0.5, v8, v6
	s_delay_alu instid0(VALU_DEP_3) | instskip(SKIP_2) | instid1(VALU_DEP_2)
	v_fmamk_f32 v5, v11, 0xbf5db3d7, v1
	v_sub_f32_e32 v15, v20, v21
	v_dual_add_f32 v4, v12, v4 :: v_dual_fmac_f32 v1, 0x3f5db3d7, v11
	v_fmamk_f32 v6, v15, 0x3f5db3d7, v2
	v_fmac_f32_e32 v2, 0xbf5db3d7, v15
	ds_store_2addr_b64 v7, v[3:4], v[5:6] offset1:27
	ds_store_b64 v7, v[1:2] offset:432
	global_wb scope:SCOPE_SE
	s_wait_dscnt 0x0
	s_barrier_signal -1
	s_barrier_wait -1
	global_inv scope:SCOPE_SE
	global_load_b128 v[1:4], v16, s[24:25] offset:48
	v_mul_lo_u16 v5, v9, 19
	s_delay_alu instid0(VALU_DEP_1)
	v_lshrrev_b16 v15, 9, v5
	ds_load_2addr_b64 v[5:8], v17 offset1:243
	ds_load_b64 v[11:12], v17 offset:3888
	global_wb scope:SCOPE_SE
	s_wait_loadcnt_dscnt 0x0
	s_barrier_signal -1
	s_barrier_wait -1
	v_mul_lo_u16 v15, v15, 27
	global_inv scope:SCOPE_SE
	v_sub_nc_u16 v9, v9, v15
	v_and_b32_e32 v15, 0xffff, v18
	s_delay_alu instid0(VALU_DEP_2) | instskip(SKIP_1) | instid1(VALU_DEP_3)
	v_dual_mul_f32 v18, v2, v8 :: v_dual_and_b32 v9, 0xff, v9
	v_mul_f32_e32 v2, v2, v7
	v_mad_u32_u24 v15, v15, 27, v19
	v_mul_f32_e32 v19, v4, v12
	v_mul_f32_e32 v4, v4, v11
	v_add_nc_u32_e32 v0, v9, v0
	v_lshlrev_b32_e32 v16, 4, v9
	v_mul_u32_u24_e32 v15, 0x48, v15
	v_fmac_f32_e32 v19, v3, v11
	v_fma_f32 v4, v3, v12, -v4
	v_mul_lo_u32 v9, v0, s6
	v_fmac_f32_e32 v18, v1, v7
	v_fma_f32 v1, v1, v8, -v2
	v_add3_u32 v7, 0, v15, v14
	s_delay_alu instid0(VALU_DEP_2) | instskip(SKIP_2) | instid1(VALU_DEP_3)
	v_dual_add_f32 v2, v18, v19 :: v_dual_sub_f32 v11, v1, v4
	v_dual_add_f32 v3, v18, v5 :: v_dual_add_f32 v8, v1, v4
	v_add_f32_e32 v12, v1, v6
	v_fma_f32 v1, -0.5, v2, v5
	v_sub_f32_e32 v14, v18, v19
	s_delay_alu instid0(VALU_DEP_4) | instskip(SKIP_1) | instid1(VALU_DEP_4)
	v_add_f32_e32 v3, v3, v19
	v_fma_f32 v2, -0.5, v8, v6
	v_fmamk_f32 v5, v11, 0xbf5db3d7, v1
	v_dual_fmac_f32 v1, 0x3f5db3d7, v11 :: v_dual_add_f32 v4, v12, v4
	s_delay_alu instid0(VALU_DEP_3)
	v_fmamk_f32 v6, v14, 0x3f5db3d7, v2
	v_fmac_f32_e32 v2, 0xbf5db3d7, v14
	ds_store_2addr_b64 v7, v[3:4], v[5:6] offset1:81
	ds_store_b64 v7, v[1:2] offset:1296
	global_wb scope:SCOPE_SE
	s_wait_dscnt 0x0
	s_barrier_signal -1
	s_barrier_wait -1
	global_inv scope:SCOPE_SE
	global_load_b128 v[1:4], v16, s[24:25] offset:192
	v_add_co_u32 v5, s0, s3, v13
	s_delay_alu instid0(VALU_DEP_1)
	v_add_co_ci_u32_e64 v6, null, 0, 0, s0
	ds_load_b64 v[13:14], v17 offset:3888
	v_mul_lo_u32 v7, v5, s5
	v_mad_co_u64_u32 v[11:12], null, v5, s4, 0
	v_mul_lo_u32 v6, v6, s4
	s_mul_i32 s0, s2, s22
	s_mul_u64 s[2:3], s[8:9], s[12:13]
	s_mul_i32 s4, s6, 27
	s_wait_alu 0xfffe
	s_lshl_b64 s[2:3], s[2:3], 3
	s_lshl_b64 s[0:1], s[0:1], 3
	s_wait_alu 0xfffe
	s_add_nc_u64 s[2:3], s[10:11], s[2:3]
	v_lshlrev_b64_e32 v[15:16], 3, v[9:10]
	v_add3_u32 v12, v12, v7, v6
	ds_load_2addr_b64 v[5:8], v17 offset1:243
	v_add_nc_u32_e32 v9, s4, v9
	s_wait_alu 0xfffe
	s_add_nc_u64 s[0:1], s[2:3], s[0:1]
	v_lshlrev_b64_e32 v[11:12], 3, v[11:12]
	s_wait_alu 0xfffe
	s_delay_alu instid0(VALU_DEP_1) | instskip(SKIP_1) | instid1(VALU_DEP_2)
	v_add_co_u32 v0, vcc_lo, s0, v11
	s_wait_alu 0xfffd
	v_add_co_ci_u32_e32 v17, vcc_lo, s1, v12, vcc_lo
	v_lshlrev_b64_e32 v[11:12], 3, v[9:10]
	v_add_nc_u32_e32 v9, s4, v9
	v_add_co_u32 v15, vcc_lo, v0, v15
	s_wait_alu 0xfffd
	v_add_co_ci_u32_e32 v16, vcc_lo, v17, v16, vcc_lo
	s_delay_alu instid0(VALU_DEP_3) | instskip(SKIP_3) | instid1(VALU_DEP_3)
	v_lshlrev_b64_e32 v[9:10], 3, v[9:10]
	v_add_co_u32 v11, vcc_lo, v0, v11
	s_wait_alu 0xfffd
	v_add_co_ci_u32_e32 v12, vcc_lo, v17, v12, vcc_lo
	v_add_co_u32 v0, vcc_lo, v0, v9
	s_wait_loadcnt_dscnt 0x0
	v_dual_mul_f32 v18, v2, v8 :: v_dual_mul_f32 v19, v4, v14
	v_mul_f32_e32 v4, v4, v13
	s_delay_alu instid0(VALU_DEP_2) | instskip(NEXT) | instid1(VALU_DEP_1)
	v_dual_fmac_f32 v18, v1, v7 :: v_dual_fmac_f32 v19, v3, v13
	v_sub_f32_e32 v13, v18, v19
	v_mul_f32_e32 v2, v2, v7
	s_delay_alu instid0(VALU_DEP_4) | instskip(SKIP_2) | instid1(VALU_DEP_4)
	v_fma_f32 v7, v3, v14, -v4
	v_add_f32_e32 v3, v18, v19
	v_add_f32_e32 v4, v18, v5
	v_fma_f32 v2, v1, v8, -v2
	s_wait_alu 0xfffd
	v_add_co_ci_u32_e32 v1, vcc_lo, v17, v10, vcc_lo
	s_delay_alu instid0(VALU_DEP_3) | instskip(NEXT) | instid1(VALU_DEP_3)
	v_add_f32_e32 v4, v4, v19
	v_add_f32_e32 v8, v2, v7
	v_add_f32_e32 v10, v2, v6
	v_sub_f32_e32 v9, v2, v7
	v_fma_f32 v2, -0.5, v3, v5
	s_delay_alu instid0(VALU_DEP_4) | instskip(NEXT) | instid1(VALU_DEP_2)
	v_fma_f32 v3, -0.5, v8, v6
	v_dual_add_f32 v5, v10, v7 :: v_dual_fmamk_f32 v6, v9, 0xbf5db3d7, v2
	s_delay_alu instid0(VALU_DEP_2)
	v_dual_fmac_f32 v2, 0x3f5db3d7, v9 :: v_dual_fmamk_f32 v7, v13, 0x3f5db3d7, v3
	v_fmac_f32_e32 v3, 0xbf5db3d7, v13
	s_clause 0x2
	global_store_b64 v[15:16], v[4:5], off
	global_store_b64 v[11:12], v[6:7], off
	;; [unrolled: 1-line block ×3, first 2 shown]
	s_nop 0
	s_sendmsg sendmsg(MSG_DEALLOC_VGPRS)
	s_endpgm
	.section	.rodata,"a",@progbits
	.p2align	6, 0x0
	.amdhsa_kernel fft_rtc_back_len81_factors_3_3_3_3_wgs_243_tpt_27_sp_op_CI_CI_sbrc_xy_z_aligned_dirReg
		.amdhsa_group_segment_fixed_size 0
		.amdhsa_private_segment_fixed_size 0
		.amdhsa_kernarg_size 104
		.amdhsa_user_sgpr_count 2
		.amdhsa_user_sgpr_dispatch_ptr 0
		.amdhsa_user_sgpr_queue_ptr 0
		.amdhsa_user_sgpr_kernarg_segment_ptr 1
		.amdhsa_user_sgpr_dispatch_id 0
		.amdhsa_user_sgpr_private_segment_size 0
		.amdhsa_wavefront_size32 1
		.amdhsa_uses_dynamic_stack 0
		.amdhsa_enable_private_segment 0
		.amdhsa_system_sgpr_workgroup_id_x 1
		.amdhsa_system_sgpr_workgroup_id_y 0
		.amdhsa_system_sgpr_workgroup_id_z 0
		.amdhsa_system_sgpr_workgroup_info 0
		.amdhsa_system_vgpr_workitem_id 0
		.amdhsa_next_free_vgpr 22
		.amdhsa_next_free_sgpr 32
		.amdhsa_reserve_vcc 1
		.amdhsa_float_round_mode_32 0
		.amdhsa_float_round_mode_16_64 0
		.amdhsa_float_denorm_mode_32 3
		.amdhsa_float_denorm_mode_16_64 3
		.amdhsa_fp16_overflow 0
		.amdhsa_workgroup_processor_mode 1
		.amdhsa_memory_ordered 1
		.amdhsa_forward_progress 0
		.amdhsa_round_robin_scheduling 0
		.amdhsa_exception_fp_ieee_invalid_op 0
		.amdhsa_exception_fp_denorm_src 0
		.amdhsa_exception_fp_ieee_div_zero 0
		.amdhsa_exception_fp_ieee_overflow 0
		.amdhsa_exception_fp_ieee_underflow 0
		.amdhsa_exception_fp_ieee_inexact 0
		.amdhsa_exception_int_div_zero 0
	.end_amdhsa_kernel
	.text
.Lfunc_end0:
	.size	fft_rtc_back_len81_factors_3_3_3_3_wgs_243_tpt_27_sp_op_CI_CI_sbrc_xy_z_aligned_dirReg, .Lfunc_end0-fft_rtc_back_len81_factors_3_3_3_3_wgs_243_tpt_27_sp_op_CI_CI_sbrc_xy_z_aligned_dirReg
                                        ; -- End function
	.section	.AMDGPU.csdata,"",@progbits
; Kernel info:
; codeLenInByte = 2416
; NumSgprs: 34
; NumVgprs: 22
; ScratchSize: 0
; MemoryBound: 0
; FloatMode: 240
; IeeeMode: 1
; LDSByteSize: 0 bytes/workgroup (compile time only)
; SGPRBlocks: 4
; VGPRBlocks: 2
; NumSGPRsForWavesPerEU: 34
; NumVGPRsForWavesPerEU: 22
; Occupancy: 16
; WaveLimiterHint : 1
; COMPUTE_PGM_RSRC2:SCRATCH_EN: 0
; COMPUTE_PGM_RSRC2:USER_SGPR: 2
; COMPUTE_PGM_RSRC2:TRAP_HANDLER: 0
; COMPUTE_PGM_RSRC2:TGID_X_EN: 1
; COMPUTE_PGM_RSRC2:TGID_Y_EN: 0
; COMPUTE_PGM_RSRC2:TGID_Z_EN: 0
; COMPUTE_PGM_RSRC2:TIDIG_COMP_CNT: 0
	.text
	.p2alignl 7, 3214868480
	.fill 96, 4, 3214868480
	.type	__hip_cuid_3a5ddf340e5a03d8,@object ; @__hip_cuid_3a5ddf340e5a03d8
	.section	.bss,"aw",@nobits
	.globl	__hip_cuid_3a5ddf340e5a03d8
__hip_cuid_3a5ddf340e5a03d8:
	.byte	0                               ; 0x0
	.size	__hip_cuid_3a5ddf340e5a03d8, 1

	.ident	"AMD clang version 19.0.0git (https://github.com/RadeonOpenCompute/llvm-project roc-6.4.0 25133 c7fe45cf4b819c5991fe208aaa96edf142730f1d)"
	.section	".note.GNU-stack","",@progbits
	.addrsig
	.addrsig_sym __hip_cuid_3a5ddf340e5a03d8
	.amdgpu_metadata
---
amdhsa.kernels:
  - .args:
      - .actual_access:  read_only
        .address_space:  global
        .offset:         0
        .size:           8
        .value_kind:     global_buffer
      - .offset:         8
        .size:           8
        .value_kind:     by_value
      - .actual_access:  read_only
        .address_space:  global
        .offset:         16
        .size:           8
        .value_kind:     global_buffer
      - .actual_access:  read_only
        .address_space:  global
        .offset:         24
        .size:           8
        .value_kind:     global_buffer
      - .actual_access:  read_only
        .address_space:  global
        .offset:         32
        .size:           8
        .value_kind:     global_buffer
      - .offset:         40
        .size:           8
        .value_kind:     by_value
      - .actual_access:  read_only
        .address_space:  global
        .offset:         48
        .size:           8
        .value_kind:     global_buffer
      - .actual_access:  read_only
        .address_space:  global
        .offset:         56
        .size:           8
        .value_kind:     global_buffer
      - .offset:         64
        .size:           4
        .value_kind:     by_value
      - .actual_access:  read_only
        .address_space:  global
        .offset:         72
        .size:           8
        .value_kind:     global_buffer
      - .actual_access:  read_only
        .address_space:  global
        .offset:         80
        .size:           8
        .value_kind:     global_buffer
      - .actual_access:  read_only
        .address_space:  global
        .offset:         88
        .size:           8
        .value_kind:     global_buffer
      - .actual_access:  write_only
        .address_space:  global
        .offset:         96
        .size:           8
        .value_kind:     global_buffer
    .group_segment_fixed_size: 0
    .kernarg_segment_align: 8
    .kernarg_segment_size: 104
    .language:       OpenCL C
    .language_version:
      - 2
      - 0
    .max_flat_workgroup_size: 243
    .name:           fft_rtc_back_len81_factors_3_3_3_3_wgs_243_tpt_27_sp_op_CI_CI_sbrc_xy_z_aligned_dirReg
    .private_segment_fixed_size: 0
    .sgpr_count:     34
    .sgpr_spill_count: 0
    .symbol:         fft_rtc_back_len81_factors_3_3_3_3_wgs_243_tpt_27_sp_op_CI_CI_sbrc_xy_z_aligned_dirReg.kd
    .uniform_work_group_size: 1
    .uses_dynamic_stack: false
    .vgpr_count:     22
    .vgpr_spill_count: 0
    .wavefront_size: 32
    .workgroup_processor_mode: 1
amdhsa.target:   amdgcn-amd-amdhsa--gfx1201
amdhsa.version:
  - 1
  - 2
...

	.end_amdgpu_metadata
